;; amdgpu-corpus repo=ROCm/rocFFT kind=compiled arch=gfx1201 opt=O3
	.text
	.amdgcn_target "amdgcn-amd-amdhsa--gfx1201"
	.amdhsa_code_object_version 6
	.protected	fft_rtc_back_len459_factors_17_3_9_wgs_255_tpt_51_halfLds_half_ip_CI_unitstride_sbrr_dirReg ; -- Begin function fft_rtc_back_len459_factors_17_3_9_wgs_255_tpt_51_halfLds_half_ip_CI_unitstride_sbrr_dirReg
	.globl	fft_rtc_back_len459_factors_17_3_9_wgs_255_tpt_51_halfLds_half_ip_CI_unitstride_sbrr_dirReg
	.p2align	8
	.type	fft_rtc_back_len459_factors_17_3_9_wgs_255_tpt_51_halfLds_half_ip_CI_unitstride_sbrr_dirReg,@function
fft_rtc_back_len459_factors_17_3_9_wgs_255_tpt_51_halfLds_half_ip_CI_unitstride_sbrr_dirReg: ; @fft_rtc_back_len459_factors_17_3_9_wgs_255_tpt_51_halfLds_half_ip_CI_unitstride_sbrr_dirReg
; %bb.0:
	s_load_b128 s[4:7], s[0:1], 0x0
	v_mul_u32_u24_e32 v1, 0x506, v0
	s_clause 0x1
	s_load_b64 s[8:9], s[0:1], 0x50
	s_load_b64 s[10:11], s[0:1], 0x18
	v_mov_b32_e32 v3, 0
	v_lshrrev_b32_e32 v1, 16, v1
	s_delay_alu instid0(VALU_DEP_1) | instskip(SKIP_3) | instid1(VALU_DEP_1)
	v_mad_co_u64_u32 v[5:6], null, ttmp9, 5, v[1:2]
	v_mov_b32_e32 v1, 0
	v_mov_b32_e32 v2, 0
	;; [unrolled: 1-line block ×3, first 2 shown]
	v_dual_mov_b32 v9, v6 :: v_dual_mov_b32 v8, v5
	s_wait_kmcnt 0x0
	v_cmp_lt_u64_e64 s2, s[6:7], 2
	s_delay_alu instid0(VALU_DEP_1)
	s_and_b32 vcc_lo, exec_lo, s2
	s_cbranch_vccnz .LBB0_8
; %bb.1:
	s_load_b64 s[2:3], s[0:1], 0x10
	v_mov_b32_e32 v7, v6
	v_dual_mov_b32 v1, 0 :: v_dual_mov_b32 v6, v5
	v_mov_b32_e32 v2, 0
	s_add_nc_u64 s[12:13], s[10:11], 8
	s_mov_b64 s[14:15], 1
	s_wait_kmcnt 0x0
	s_add_nc_u64 s[16:17], s[2:3], 8
	s_mov_b32 s3, 0
.LBB0_2:                                ; =>This Inner Loop Header: Depth=1
	s_load_b64 s[18:19], s[16:17], 0x0
                                        ; implicit-def: $vgpr8_vgpr9
	s_mov_b32 s2, exec_lo
	s_wait_kmcnt 0x0
	v_or_b32_e32 v4, s19, v7
	s_delay_alu instid0(VALU_DEP_1)
	v_cmpx_ne_u64_e32 0, v[3:4]
	s_wait_alu 0xfffe
	s_xor_b32 s20, exec_lo, s2
	s_cbranch_execz .LBB0_4
; %bb.3:                                ;   in Loop: Header=BB0_2 Depth=1
	s_cvt_f32_u32 s2, s18
	s_cvt_f32_u32 s21, s19
	s_sub_nc_u64 s[24:25], 0, s[18:19]
	s_wait_alu 0xfffe
	s_delay_alu instid0(SALU_CYCLE_1) | instskip(SKIP_1) | instid1(SALU_CYCLE_2)
	s_fmamk_f32 s2, s21, 0x4f800000, s2
	s_wait_alu 0xfffe
	v_s_rcp_f32 s2, s2
	s_delay_alu instid0(TRANS32_DEP_1) | instskip(SKIP_1) | instid1(SALU_CYCLE_2)
	s_mul_f32 s2, s2, 0x5f7ffffc
	s_wait_alu 0xfffe
	s_mul_f32 s21, s2, 0x2f800000
	s_wait_alu 0xfffe
	s_delay_alu instid0(SALU_CYCLE_2) | instskip(SKIP_1) | instid1(SALU_CYCLE_2)
	s_trunc_f32 s21, s21
	s_wait_alu 0xfffe
	s_fmamk_f32 s2, s21, 0xcf800000, s2
	s_cvt_u32_f32 s23, s21
	s_wait_alu 0xfffe
	s_delay_alu instid0(SALU_CYCLE_1) | instskip(SKIP_1) | instid1(SALU_CYCLE_2)
	s_cvt_u32_f32 s22, s2
	s_wait_alu 0xfffe
	s_mul_u64 s[26:27], s[24:25], s[22:23]
	s_wait_alu 0xfffe
	s_mul_hi_u32 s29, s22, s27
	s_mul_i32 s28, s22, s27
	s_mul_hi_u32 s2, s22, s26
	s_mul_i32 s30, s23, s26
	s_wait_alu 0xfffe
	s_add_nc_u64 s[28:29], s[2:3], s[28:29]
	s_mul_hi_u32 s21, s23, s26
	s_mul_hi_u32 s31, s23, s27
	s_add_co_u32 s2, s28, s30
	s_wait_alu 0xfffe
	s_add_co_ci_u32 s2, s29, s21
	s_mul_i32 s26, s23, s27
	s_add_co_ci_u32 s27, s31, 0
	s_wait_alu 0xfffe
	s_add_nc_u64 s[26:27], s[2:3], s[26:27]
	s_wait_alu 0xfffe
	v_add_co_u32 v4, s2, s22, s26
	s_delay_alu instid0(VALU_DEP_1) | instskip(SKIP_1) | instid1(VALU_DEP_1)
	s_cmp_lg_u32 s2, 0
	s_add_co_ci_u32 s23, s23, s27
	v_readfirstlane_b32 s22, v4
	s_wait_alu 0xfffe
	s_delay_alu instid0(VALU_DEP_1)
	s_mul_u64 s[24:25], s[24:25], s[22:23]
	s_wait_alu 0xfffe
	s_mul_hi_u32 s27, s22, s25
	s_mul_i32 s26, s22, s25
	s_mul_hi_u32 s2, s22, s24
	s_mul_i32 s28, s23, s24
	s_wait_alu 0xfffe
	s_add_nc_u64 s[26:27], s[2:3], s[26:27]
	s_mul_hi_u32 s21, s23, s24
	s_mul_hi_u32 s22, s23, s25
	s_wait_alu 0xfffe
	s_add_co_u32 s2, s26, s28
	s_add_co_ci_u32 s2, s27, s21
	s_mul_i32 s24, s23, s25
	s_add_co_ci_u32 s25, s22, 0
	s_wait_alu 0xfffe
	s_add_nc_u64 s[24:25], s[2:3], s[24:25]
	s_wait_alu 0xfffe
	v_add_co_u32 v4, s2, v4, s24
	s_delay_alu instid0(VALU_DEP_1) | instskip(SKIP_1) | instid1(VALU_DEP_1)
	s_cmp_lg_u32 s2, 0
	s_add_co_ci_u32 s2, s23, s25
	v_mul_hi_u32 v14, v6, v4
	s_wait_alu 0xfffe
	v_mad_co_u64_u32 v[8:9], null, v6, s2, 0
	v_mad_co_u64_u32 v[10:11], null, v7, v4, 0
	;; [unrolled: 1-line block ×3, first 2 shown]
	s_delay_alu instid0(VALU_DEP_3) | instskip(SKIP_1) | instid1(VALU_DEP_4)
	v_add_co_u32 v4, vcc_lo, v14, v8
	s_wait_alu 0xfffd
	v_add_co_ci_u32_e32 v8, vcc_lo, 0, v9, vcc_lo
	s_delay_alu instid0(VALU_DEP_2) | instskip(SKIP_1) | instid1(VALU_DEP_2)
	v_add_co_u32 v4, vcc_lo, v4, v10
	s_wait_alu 0xfffd
	v_add_co_ci_u32_e32 v4, vcc_lo, v8, v11, vcc_lo
	s_wait_alu 0xfffd
	v_add_co_ci_u32_e32 v8, vcc_lo, 0, v13, vcc_lo
	s_delay_alu instid0(VALU_DEP_2) | instskip(SKIP_1) | instid1(VALU_DEP_2)
	v_add_co_u32 v4, vcc_lo, v4, v12
	s_wait_alu 0xfffd
	v_add_co_ci_u32_e32 v10, vcc_lo, 0, v8, vcc_lo
	s_delay_alu instid0(VALU_DEP_2) | instskip(SKIP_1) | instid1(VALU_DEP_3)
	v_mul_lo_u32 v11, s19, v4
	v_mad_co_u64_u32 v[8:9], null, s18, v4, 0
	v_mul_lo_u32 v12, s18, v10
	s_delay_alu instid0(VALU_DEP_2) | instskip(NEXT) | instid1(VALU_DEP_2)
	v_sub_co_u32 v8, vcc_lo, v6, v8
	v_add3_u32 v9, v9, v12, v11
	s_delay_alu instid0(VALU_DEP_1) | instskip(SKIP_1) | instid1(VALU_DEP_1)
	v_sub_nc_u32_e32 v11, v7, v9
	s_wait_alu 0xfffd
	v_subrev_co_ci_u32_e64 v11, s2, s19, v11, vcc_lo
	v_add_co_u32 v12, s2, v4, 2
	s_wait_alu 0xf1ff
	v_add_co_ci_u32_e64 v13, s2, 0, v10, s2
	v_sub_co_u32 v14, s2, v8, s18
	v_sub_co_ci_u32_e32 v9, vcc_lo, v7, v9, vcc_lo
	s_wait_alu 0xf1ff
	v_subrev_co_ci_u32_e64 v11, s2, 0, v11, s2
	s_delay_alu instid0(VALU_DEP_3) | instskip(NEXT) | instid1(VALU_DEP_3)
	v_cmp_le_u32_e32 vcc_lo, s18, v14
	v_cmp_eq_u32_e64 s2, s19, v9
	s_wait_alu 0xfffd
	v_cndmask_b32_e64 v14, 0, -1, vcc_lo
	v_cmp_le_u32_e32 vcc_lo, s19, v11
	s_wait_alu 0xfffd
	v_cndmask_b32_e64 v15, 0, -1, vcc_lo
	v_cmp_le_u32_e32 vcc_lo, s18, v8
	;; [unrolled: 3-line block ×3, first 2 shown]
	s_wait_alu 0xfffd
	v_cndmask_b32_e64 v16, 0, -1, vcc_lo
	v_cmp_eq_u32_e32 vcc_lo, s19, v11
	s_wait_alu 0xf1ff
	s_delay_alu instid0(VALU_DEP_2)
	v_cndmask_b32_e64 v8, v16, v8, s2
	s_wait_alu 0xfffd
	v_cndmask_b32_e32 v11, v15, v14, vcc_lo
	v_add_co_u32 v14, vcc_lo, v4, 1
	s_wait_alu 0xfffd
	v_add_co_ci_u32_e32 v15, vcc_lo, 0, v10, vcc_lo
	s_delay_alu instid0(VALU_DEP_3) | instskip(SKIP_2) | instid1(VALU_DEP_3)
	v_cmp_ne_u32_e32 vcc_lo, 0, v11
	s_wait_alu 0xfffd
	v_cndmask_b32_e32 v11, v14, v12, vcc_lo
	v_cndmask_b32_e32 v9, v15, v13, vcc_lo
	v_cmp_ne_u32_e32 vcc_lo, 0, v8
	s_wait_alu 0xfffd
	s_delay_alu instid0(VALU_DEP_2)
	v_dual_cndmask_b32 v8, v4, v11 :: v_dual_cndmask_b32 v9, v10, v9
.LBB0_4:                                ;   in Loop: Header=BB0_2 Depth=1
	s_wait_alu 0xfffe
	s_and_not1_saveexec_b32 s2, s20
	s_cbranch_execz .LBB0_6
; %bb.5:                                ;   in Loop: Header=BB0_2 Depth=1
	v_cvt_f32_u32_e32 v4, s18
	s_sub_co_i32 s20, 0, s18
	s_delay_alu instid0(VALU_DEP_1) | instskip(NEXT) | instid1(TRANS32_DEP_1)
	v_rcp_iflag_f32_e32 v4, v4
	v_mul_f32_e32 v4, 0x4f7ffffe, v4
	s_delay_alu instid0(VALU_DEP_1) | instskip(SKIP_1) | instid1(VALU_DEP_1)
	v_cvt_u32_f32_e32 v4, v4
	s_wait_alu 0xfffe
	v_mul_lo_u32 v8, s20, v4
	s_delay_alu instid0(VALU_DEP_1) | instskip(NEXT) | instid1(VALU_DEP_1)
	v_mul_hi_u32 v8, v4, v8
	v_add_nc_u32_e32 v4, v4, v8
	s_delay_alu instid0(VALU_DEP_1) | instskip(NEXT) | instid1(VALU_DEP_1)
	v_mul_hi_u32 v4, v6, v4
	v_mul_lo_u32 v8, v4, s18
	s_delay_alu instid0(VALU_DEP_1) | instskip(NEXT) | instid1(VALU_DEP_1)
	v_sub_nc_u32_e32 v8, v6, v8
	v_subrev_nc_u32_e32 v10, s18, v8
	v_cmp_le_u32_e32 vcc_lo, s18, v8
	s_wait_alu 0xfffd
	s_delay_alu instid0(VALU_DEP_2) | instskip(NEXT) | instid1(VALU_DEP_1)
	v_dual_cndmask_b32 v8, v8, v10 :: v_dual_add_nc_u32 v9, 1, v4
	v_cndmask_b32_e32 v4, v4, v9, vcc_lo
	s_delay_alu instid0(VALU_DEP_2) | instskip(NEXT) | instid1(VALU_DEP_2)
	v_cmp_le_u32_e32 vcc_lo, s18, v8
	v_add_nc_u32_e32 v9, 1, v4
	s_wait_alu 0xfffd
	s_delay_alu instid0(VALU_DEP_1)
	v_dual_cndmask_b32 v8, v4, v9 :: v_dual_mov_b32 v9, v3
.LBB0_6:                                ;   in Loop: Header=BB0_2 Depth=1
	s_wait_alu 0xfffe
	s_or_b32 exec_lo, exec_lo, s2
	s_load_b64 s[20:21], s[12:13], 0x0
	s_delay_alu instid0(VALU_DEP_1)
	v_mul_lo_u32 v4, v9, s18
	v_mul_lo_u32 v12, v8, s19
	v_mad_co_u64_u32 v[10:11], null, v8, s18, 0
	s_add_nc_u64 s[14:15], s[14:15], 1
	s_add_nc_u64 s[12:13], s[12:13], 8
	s_wait_alu 0xfffe
	v_cmp_ge_u64_e64 s2, s[14:15], s[6:7]
	s_add_nc_u64 s[16:17], s[16:17], 8
	s_delay_alu instid0(VALU_DEP_2) | instskip(NEXT) | instid1(VALU_DEP_3)
	v_add3_u32 v4, v11, v12, v4
	v_sub_co_u32 v6, vcc_lo, v6, v10
	s_wait_alu 0xfffd
	s_delay_alu instid0(VALU_DEP_2) | instskip(SKIP_3) | instid1(VALU_DEP_2)
	v_sub_co_ci_u32_e32 v4, vcc_lo, v7, v4, vcc_lo
	s_and_b32 vcc_lo, exec_lo, s2
	s_wait_kmcnt 0x0
	v_mul_lo_u32 v7, s21, v6
	v_mul_lo_u32 v4, s20, v4
	v_mad_co_u64_u32 v[1:2], null, s20, v6, v[1:2]
	s_delay_alu instid0(VALU_DEP_1)
	v_add3_u32 v2, v7, v2, v4
	s_wait_alu 0xfffe
	s_cbranch_vccnz .LBB0_8
; %bb.7:                                ;   in Loop: Header=BB0_2 Depth=1
	v_dual_mov_b32 v6, v8 :: v_dual_mov_b32 v7, v9
	s_branch .LBB0_2
.LBB0_8:
	s_lshl_b64 s[2:3], s[6:7], 3
	v_mul_hi_u32 v3, 0x5050506, v0
	s_wait_alu 0xfffe
	s_add_nc_u64 s[2:3], s[10:11], s[2:3]
	v_mov_b32_e32 v6, 0
	s_load_b64 s[2:3], s[2:3], 0x0
	s_load_b64 s[0:1], s[0:1], 0x20
	v_mov_b32_e32 v4, 0
                                        ; implicit-def: $vgpr42
                                        ; implicit-def: $vgpr18
                                        ; implicit-def: $vgpr39
                                        ; implicit-def: $vgpr19
                                        ; implicit-def: $vgpr37
                                        ; implicit-def: $vgpr20
                                        ; implicit-def: $vgpr35
                                        ; implicit-def: $vgpr21
                                        ; implicit-def: $vgpr34
                                        ; implicit-def: $vgpr22
                                        ; implicit-def: $vgpr31
                                        ; implicit-def: $vgpr23
                                        ; implicit-def: $vgpr28
                                        ; implicit-def: $vgpr24
                                        ; implicit-def: $vgpr17
                                        ; implicit-def: $vgpr25
                                        ; implicit-def: $vgpr40
                                        ; implicit-def: $vgpr36
                                        ; implicit-def: $vgpr11
                                        ; implicit-def: $vgpr33
                                        ; implicit-def: $vgpr12
                                        ; implicit-def: $vgpr32
                                        ; implicit-def: $vgpr13
                                        ; implicit-def: $vgpr30
                                        ; implicit-def: $vgpr14
                                        ; implicit-def: $vgpr29
                                        ; implicit-def: $vgpr15
                                        ; implicit-def: $vgpr27
                                        ; implicit-def: $vgpr16
                                        ; implicit-def: $vgpr26
	s_delay_alu instid0(VALU_DEP_3) | instskip(NEXT) | instid1(VALU_DEP_1)
	v_mul_u32_u24_e32 v3, 51, v3
	v_sub_nc_u32_e32 v3, v0, v3
	s_wait_kmcnt 0x0
	v_mul_lo_u32 v7, s2, v9
	v_mul_lo_u32 v10, s3, v8
	v_mad_co_u64_u32 v[1:2], null, s2, v8, v[1:2]
	v_cmp_gt_u64_e32 vcc_lo, s[0:1], v[8:9]
                                        ; implicit-def: $vgpr9
	s_delay_alu instid0(VALU_DEP_2)
	v_add3_u32 v2, v10, v2, v7
	v_mov_b32_e32 v7, 0
                                        ; implicit-def: $vgpr10
	s_and_saveexec_b32 s1, vcc_lo
	s_cbranch_execz .LBB0_12
; %bb.9:
	v_cmp_gt_u32_e64 s0, 27, v3
	v_dual_mov_b32 v7, 0 :: v_dual_mov_b32 v6, 0
                                        ; implicit-def: $vgpr26
                                        ; implicit-def: $vgpr16
                                        ; implicit-def: $vgpr27
                                        ; implicit-def: $vgpr15
                                        ; implicit-def: $vgpr29
                                        ; implicit-def: $vgpr14
                                        ; implicit-def: $vgpr30
                                        ; implicit-def: $vgpr13
                                        ; implicit-def: $vgpr32
                                        ; implicit-def: $vgpr12
                                        ; implicit-def: $vgpr33
                                        ; implicit-def: $vgpr11
                                        ; implicit-def: $vgpr36
                                        ; implicit-def: $vgpr10
                                        ; implicit-def: $vgpr40
                                        ; implicit-def: $vgpr9
                                        ; implicit-def: $vgpr25
                                        ; implicit-def: $vgpr17
                                        ; implicit-def: $vgpr24
                                        ; implicit-def: $vgpr28
                                        ; implicit-def: $vgpr23
                                        ; implicit-def: $vgpr31
                                        ; implicit-def: $vgpr22
                                        ; implicit-def: $vgpr34
                                        ; implicit-def: $vgpr21
                                        ; implicit-def: $vgpr35
                                        ; implicit-def: $vgpr20
                                        ; implicit-def: $vgpr37
                                        ; implicit-def: $vgpr19
                                        ; implicit-def: $vgpr39
                                        ; implicit-def: $vgpr18
                                        ; implicit-def: $vgpr42
	s_delay_alu instid0(VALU_DEP_2)
	s_and_saveexec_b32 s2, s0
	s_cbranch_execz .LBB0_11
; %bb.10:
	v_mov_b32_e32 v4, 0
	v_lshlrev_b64_e32 v[6:7], 2, v[1:2]
	s_delay_alu instid0(VALU_DEP_2) | instskip(NEXT) | instid1(VALU_DEP_2)
	v_lshlrev_b64_e32 v[8:9], 2, v[3:4]
	v_add_co_u32 v0, s0, s8, v6
	s_wait_alu 0xf1ff
	s_delay_alu instid0(VALU_DEP_3) | instskip(NEXT) | instid1(VALU_DEP_2)
	v_add_co_ci_u32_e64 v4, s0, s9, v7, s0
	v_add_co_u32 v8, s0, v0, v8
	s_wait_alu 0xf1ff
	s_delay_alu instid0(VALU_DEP_2)
	v_add_co_ci_u32_e64 v9, s0, v4, v9, s0
	s_clause 0x10
	global_load_b32 v7, v[8:9], off
	global_load_b32 v18, v[8:9], off offset:108
	global_load_b32 v19, v[8:9], off offset:216
	;; [unrolled: 1-line block ×16, first 2 shown]
	s_wait_loadcnt 0x10
	v_lshrrev_b32_e32 v6, 16, v7
	s_wait_loadcnt 0xf
	v_lshrrev_b32_e32 v42, 16, v18
	;; [unrolled: 2-line block ×17, first 2 shown]
.LBB0_11:
	s_wait_alu 0xfffe
	s_or_b32 exec_lo, exec_lo, s2
	v_mov_b32_e32 v4, v3
.LBB0_12:
	s_wait_alu 0xfffe
	s_or_b32 exec_lo, exec_lo, s1
	v_mul_hi_u32 v0, 0xcccccccd, v5
	v_cmp_gt_u32_e64 s0, 27, v3
	s_delay_alu instid0(VALU_DEP_2) | instskip(NEXT) | instid1(VALU_DEP_1)
	v_lshrrev_b32_e32 v0, 2, v0
	v_lshl_add_u32 v0, v0, 2, v0
	s_delay_alu instid0(VALU_DEP_1) | instskip(NEXT) | instid1(VALU_DEP_1)
	v_sub_nc_u32_e32 v0, v5, v0
	v_mul_u32_u24_e32 v0, 0x1cb, v0
	s_delay_alu instid0(VALU_DEP_1)
	v_lshlrev_b32_e32 v0, 1, v0
	s_and_saveexec_b32 s1, s0
	s_cbranch_execz .LBB0_14
; %bb.13:
	v_sub_f16_e32 v38, v42, v9
	v_add_f16_e32 v8, v18, v40
	v_sub_f16_e32 v45, v39, v10
	v_mul_u32_u24_e32 v43, 34, v3
	v_add_f16_e32 v41, v19, v36
	v_pk_mul_f16 v59, 0xb964b5c8, v38 op_sel_hi:[1,0]
	v_sub_f16_e32 v47, v37, v11
	v_pk_mul_f16 v60, 0xbbf7b964, v45 op_sel_hi:[1,0]
	v_add3_u32 v58, 0, v43, v0
	v_add_f16_e32 v46, v20, v33
	v_pk_fma_f16 v43, 0x39e93b76, v8, v59 op_sel_hi:[1,0,1]
	v_sub_f16_e32 v49, v35, v12
	v_pk_mul_f16 v61, 0xba62bb29, v47 op_sel_hi:[1,0]
	v_pk_fma_f16 v44, 0x2de839e9, v41, v60 op_sel_hi:[1,0,1]
	v_add_f16_e32 v48, v21, v32
	v_pk_add_f16 v43, v7, v43 op_sel_hi:[0,1]
	v_sub_f16_e32 v51, v34, v13
	v_pk_mul_f16 v62, 0xb1e1bbf7, v49 op_sel_hi:[1,0]
	v_pk_mul_f16 v67, 0xbbf7bb29, v38 op_sel_hi:[1,0]
	v_pk_fma_f16 v75, 0xb8d23722, v46, v61 op_sel_hi:[1,0,1]
	v_pk_add_f16 v43, v43, v44
	v_add_f16_e32 v50, v22, v30
	v_sub_f16_e32 v53, v31, v14
	v_pk_mul_f16 v63, 0x3836bbb2, v51 op_sel_hi:[1,0]
	v_pk_mul_f16 v68, 0xb1e1ba62, v45 op_sel_hi:[1,0]
	v_pk_fma_f16 v76, 0x2de83722, v8, v67 op_sel_hi:[1,0,1]
	v_pk_fma_f16 v44, 0xbbdd2de8, v48, v62 op_sel_hi:[1,0,1]
	v_pk_add_f16 v43, v43, v75
	v_add_f16_e32 v52, v23, v29
	v_sub_f16_e32 v55, v28, v15
	v_pk_mul_f16 v64, 0x3bb2ba62, v53 op_sel_hi:[1,0]
	v_pk_mul_f16 v69, 0x3bb231e1, v47 op_sel_hi:[1,0]
	v_pk_fma_f16 v77, 0xbbddb8d2, v41, v68 op_sel_hi:[1,0,1]
	v_pk_add_f16 v76, v7, v76 op_sel_hi:[0,1]
	v_pk_fma_f16 v75, 0xbacdb461, v50, v63 op_sel_hi:[1,0,1]
	v_pk_add_f16 v43, v43, v44
	v_add_f16_e32 v54, v24, v27
	v_pk_mul_f16 v65, 0x3b29b836, v55 op_sel_hi:[1,0]
	v_pk_mul_f16 v70, 0x35c83bb2, v49 op_sel_hi:[1,0]
	v_pk_fma_f16 v78, 0xb461bbdd, v46, v69 op_sel_hi:[1,0,1]
	v_pk_add_f16 v76, v76, v77
	v_pk_fma_f16 v44, 0xb461b8d2, v52, v64 op_sel_hi:[1,0,1]
	v_pk_add_f16 v43, v43, v75
	v_pk_mul_f16 v71, 0xbb293964, v51 op_sel_hi:[1,0]
	v_pk_mul_f16 v74, 0xba62bbb2, v38 op_sel_hi:[1,0]
	v_pk_fma_f16 v77, 0x3b76b461, v48, v70 op_sel_hi:[1,0,1]
	v_pk_add_f16 v76, v76, v78
	v_pk_fma_f16 v75, 0x3722bacd, v54, v65 op_sel_hi:[1,0,1]
	v_pk_add_f16 v43, v43, v44
	v_pk_mul_f16 v72, 0xb836b5c8, v53 op_sel_hi:[1,0]
	v_pk_fma_f16 v78, 0x372239e9, v50, v71 op_sel_hi:[1,0,1]
	v_pk_add_f16 v76, v76, v77
	v_pk_fma_f16 v77, 0xb8d2b461, v8, v74 op_sel_hi:[1,0,1]
	v_pk_add_f16 v43, v43, v75
	v_pk_mul_f16 v75, 0x3bb23836, v45 op_sel_hi:[1,0]
	v_sub_f16_e32 v57, v17, v16
	v_pk_mul_f16 v73, 0x3a62bbf7, v55 op_sel_hi:[1,0]
	v_pk_fma_f16 v44, 0xbacd3b76, v52, v72 op_sel_hi:[1,0,1]
	v_pk_add_f16 v76, v76, v78
	v_pk_add_f16 v77, v7, v77 op_sel_hi:[0,1]
	v_pk_fma_f16 v79, 0xb461bacd, v41, v75 op_sel_hi:[1,0,1]
	v_pk_mul_f16 v80, 0xb5c83964, v47 op_sel_hi:[1,0]
	v_add_f16_e32 v56, v25, v26
	v_pk_mul_f16 v78, 0x3964b836, v57 op_sel_hi:[1,0]
	v_pk_add_f16 v44, v76, v44
	v_pk_fma_f16 v76, 0xb8d22de8, v54, v73 op_sel_hi:[1,0,1]
	v_pk_add_f16 v77, v77, v79
	v_pk_fma_f16 v79, 0x3b7639e9, v46, v80 op_sel_hi:[1,0,1]
	v_pk_mul_f16 v82, 0xb836bb29, v49 op_sel_hi:[1,0]
	v_pk_mul_f16 v38, 0xb1e1b836, v38 op_sel_hi:[1,0]
	v_pk_add_f16 v44, v44, v76
	v_pk_fma_f16 v76, 0x39e9bacd, v56, v78 op_sel_hi:[1,0,1]
	v_pk_add_f16 v77, v77, v79
	v_pk_fma_f16 v79, 0xbacd3722, v48, v82 op_sel_hi:[1,0,1]
	v_pk_mul_f16 v66, 0x35c8b1e1, v57 op_sel_hi:[1,0]
	v_pk_mul_f16 v45, 0x35c83b29, v45 op_sel_hi:[1,0]
	v_pk_add_f16 v44, v44, v76
	v_pk_mul_f16 v76, 0x3bf7b1e1, v51 op_sel_hi:[1,0]
	v_pk_add_f16 v77, v77, v79
	v_pk_fma_f16 v79, 0xbbddbacd, v8, v38 op_sel_hi:[1,0,1]
	v_add_f16_e32 v5, v7, v18
	v_pk_fma_f16 v81, 0x3b76bbdd, v56, v66 op_sel_hi:[1,0,1]
	v_pk_fma_f16 v38, 0xbbddbacd, v8, v38 op_sel_hi:[1,0,1] neg_lo:[0,0,1] neg_hi:[0,0,1]
	v_pk_fma_f16 v85, 0x2de8bbdd, v50, v76 op_sel_hi:[1,0,1]
	v_pk_mul_f16 v47, 0xb836bbf7, v47 op_sel_hi:[1,0]
	v_pk_add_f16 v79, v7, v79 op_sel_hi:[0,1]
	v_pk_fma_f16 v86, 0x3b763722, v41, v45 op_sel_hi:[1,0,1]
	v_add_f16_e32 v5, v5, v19
	v_pk_add_f16 v43, v43, v81
	v_pk_mul_f16 v81, 0xb9643bf7, v53 op_sel_hi:[1,0]
	v_pk_add_f16 v38, v7, v38 op_sel_hi:[0,1]
	v_pk_fma_f16 v45, 0x3b763722, v41, v45 op_sel_hi:[1,0,1] neg_lo:[0,0,1] neg_hi:[0,0,1]
	v_pk_add_f16 v77, v77, v85
	v_pk_mul_f16 v49, 0x39643a62, v49 op_sel_hi:[1,0]
	v_pk_add_f16 v79, v79, v86
	v_pk_fma_f16 v85, 0xbacd2de8, v46, v47 op_sel_hi:[1,0,1]
	v_add_f16_e32 v5, v5, v20
	v_pk_add_f16 v38, v38, v45
	v_pk_fma_f16 v45, 0xbacd2de8, v46, v47 op_sel_hi:[1,0,1] neg_lo:[0,0,1] neg_hi:[0,0,1]
	v_pk_fma_f16 v47, 0x39e92de8, v52, v81 op_sel_hi:[1,0,1]
	v_pk_mul_f16 v51, 0xba62b5c8, v51 op_sel_hi:[1,0]
	v_pk_add_f16 v79, v79, v85
	v_pk_fma_f16 v85, 0x39e9b8d2, v48, v49 op_sel_hi:[1,0,1]
	v_add_f16_e32 v5, v5, v21
	v_pk_mul_f16 v83, 0xb1e1b5c8, v55 op_sel_hi:[1,0]
	v_pk_add_f16 v38, v38, v45
	v_pk_fma_f16 v45, 0x39e9b8d2, v48, v49 op_sel_hi:[1,0,1] neg_lo:[0,0,1] neg_hi:[0,0,1]
	v_pk_add_f16 v47, v77, v47
	v_pk_mul_f16 v49, 0x3b29b1e1, v53 op_sel_hi:[1,0]
	v_pk_add_f16 v53, v79, v85
	v_pk_fma_f16 v77, 0xb8d23b76, v50, v51 op_sel_hi:[1,0,1]
	v_add_f16_e32 v5, v5, v22
	v_pk_mul_f16 v84, 0x3b29ba62, v57 op_sel_hi:[1,0]
	v_pk_add_f16 v38, v38, v45
	v_pk_fma_f16 v45, 0xb8d23b76, v50, v51 op_sel_hi:[1,0,1] neg_lo:[0,0,1] neg_hi:[0,0,1]
	v_pk_fma_f16 v51, 0xbbdd3b76, v54, v83 op_sel_hi:[1,0,1]
	v_pk_mul_f16 v55, 0xbbb23964, v55 op_sel_hi:[1,0]
	v_pk_add_f16 v53, v53, v77
	v_pk_fma_f16 v77, 0x3722bbdd, v52, v49 op_sel_hi:[1,0,1]
	v_add_f16_e32 v5, v5, v23
	v_pk_add_f16 v38, v38, v45
	v_pk_fma_f16 v45, 0x3722bbdd, v52, v49 op_sel_hi:[1,0,1] neg_lo:[0,0,1] neg_hi:[0,0,1]
	v_pk_add_f16 v47, v47, v51
	v_pk_fma_f16 v49, 0x3722b8d2, v56, v84 op_sel_hi:[1,0,1]
	v_pk_add_f16 v51, v53, v77
	v_pk_fma_f16 v53, 0xb46139e9, v54, v55 op_sel_hi:[1,0,1]
	v_add_f16_e32 v5, v5, v24
	v_pk_add_f16 v38, v38, v45
	v_pk_add_f16 v45, v47, v49
	v_pk_mul_f16 v47, 0x3bf7bbb2, v57 op_sel_hi:[1,0]
	v_pk_add_f16 v49, v51, v53
	v_pk_fma_f16 v51, 0xb8d2b461, v8, v74 op_sel_hi:[1,0,1] neg_lo:[0,0,1] neg_hi:[0,0,1]
	v_pk_fma_f16 v53, 0x2de83722, v8, v67 op_sel_hi:[1,0,1] neg_lo:[0,0,1] neg_hi:[0,0,1]
	;; [unrolled: 1-line block ×3, first 2 shown]
	v_add_f16_e32 v5, v5, v25
	v_pk_fma_f16 v57, 0xb461bacd, v41, v75 op_sel_hi:[1,0,1] neg_lo:[0,0,1] neg_hi:[0,0,1]
	v_pk_add_f16 v51, v7, v51 op_sel_hi:[0,1]
	v_pk_add_f16 v53, v7, v53 op_sel_hi:[0,1]
	v_pk_fma_f16 v59, 0xbbddb8d2, v41, v68 op_sel_hi:[1,0,1] neg_lo:[0,0,1] neg_hi:[0,0,1]
	v_pk_add_f16 v7, v7, v8 op_sel_hi:[0,1]
	v_pk_fma_f16 v8, 0x2de839e9, v41, v60 op_sel_hi:[1,0,1] neg_lo:[0,0,1] neg_hi:[0,0,1]
	v_add_f16_e32 v5, v5, v26
	v_pk_add_f16 v41, v51, v57
	v_pk_fma_f16 v51, 0x3b7639e9, v46, v80 op_sel_hi:[1,0,1] neg_lo:[0,0,1] neg_hi:[0,0,1]
	v_pk_add_f16 v53, v53, v59
	v_pk_fma_f16 v57, 0xb461bbdd, v46, v69 op_sel_hi:[1,0,1] neg_lo:[0,0,1] neg_hi:[0,0,1]
	v_pk_add_f16 v7, v7, v8
	v_pk_fma_f16 v8, 0xb8d23722, v46, v61 op_sel_hi:[1,0,1] neg_lo:[0,0,1] neg_hi:[0,0,1]
	v_add_f16_e32 v5, v27, v5
	v_pk_add_f16 v41, v41, v51
	v_pk_fma_f16 v46, 0xbacd3722, v48, v82 op_sel_hi:[1,0,1] neg_lo:[0,0,1] neg_hi:[0,0,1]
	v_pk_add_f16 v51, v53, v57
	v_pk_fma_f16 v53, 0x3b76b461, v48, v70 op_sel_hi:[1,0,1] neg_lo:[0,0,1] neg_hi:[0,0,1]
	v_pk_add_f16 v7, v7, v8
	;; [unrolled: 7-line block ×4, first 2 shown]
	v_pk_fma_f16 v8, 0xb461b8d2, v52, v64 op_sel_hi:[1,0,1] neg_lo:[0,0,1] neg_hi:[0,0,1]
	v_add_f16_e32 v5, v32, v5
	v_pk_fma_f16 v55, 0xb46139e9, v54, v55 op_sel_hi:[1,0,1] neg_lo:[0,0,1] neg_hi:[0,0,1]
	v_pk_add_f16 v41, v41, v46
	v_pk_fma_f16 v46, 0xbbdd3b76, v54, v83 op_sel_hi:[1,0,1] neg_lo:[0,0,1] neg_hi:[0,0,1]
	v_pk_add_f16 v48, v48, v50
	;; [unrolled: 2-line block ×3, first 2 shown]
	v_pk_fma_f16 v8, 0x3722bacd, v54, v65 op_sel_hi:[1,0,1] neg_lo:[0,0,1] neg_hi:[0,0,1]
	v_add_f16_e32 v5, v33, v5
	v_pk_add_f16 v38, v38, v55
	v_pk_fma_f16 v55, 0x2de8b461, v56, v47 op_sel_hi:[1,0,1] neg_lo:[0,0,1] neg_hi:[0,0,1]
	v_pk_add_f16 v41, v41, v46
	v_pk_fma_f16 v46, 0x3722b8d2, v56, v84 op_sel_hi:[1,0,1] neg_lo:[0,0,1] neg_hi:[0,0,1]
	;; [unrolled: 2-line block ×4, first 2 shown]
	v_add_f16_e32 v5, v36, v5
	v_pk_fma_f16 v47, 0x2de8b461, v56, v47 op_sel_hi:[1,0,1]
	v_pk_add_f16 v38, v38, v55
	v_pk_add_f16 v41, v41, v46
	v_pk_add_f16 v50, v48, v50
	v_pk_add_f16 v7, v7, v8
	v_add_f16_e32 v5, v40, v5
	v_pk_add_f16 v46, v49, v47
	v_alignbit_b32 v47, v38, v38, 16
	v_alignbit_b32 v48, v41, v41, 16
	;; [unrolled: 1-line block ×4, first 2 shown]
	ds_store_b16 v58, v5
	ds_store_b128 v58, v[43:46] offset:2
	ds_store_b128 v58, v[47:50] offset:18
.LBB0_14:
	s_wait_alu 0xfffe
	s_or_b32 exec_lo, exec_lo, s1
	v_lshlrev_b32_e32 v5, 1, v3
	global_wb scope:SCOPE_SE
	s_wait_dscnt 0x0
	s_barrier_signal -1
	s_barrier_wait -1
	global_inv scope:SCOPE_SE
	v_add_nc_u32_e32 v49, 0, v5
	v_add3_u32 v7, 0, v0, v5
	s_delay_alu instid0(VALU_DEP_2)
	v_add_nc_u32_e32 v8, v49, v0
	ds_load_u16 v5, v7
	ds_load_u16 v38, v8 offset:102
	ds_load_u16 v44, v8 offset:408
	;; [unrolled: 1-line block ×8, first 2 shown]
	global_wb scope:SCOPE_SE
	s_wait_dscnt 0x0
	s_barrier_signal -1
	s_barrier_wait -1
	global_inv scope:SCOPE_SE
	s_and_saveexec_b32 s1, s0
	s_cbranch_execz .LBB0_16
; %bb.15:
	v_add_f16_e32 v50, v6, v42
	v_sub_f16_e32 v19, v19, v36
	v_sub_f16_e32 v21, v21, v32
	;; [unrolled: 1-line block ×4, first 2 shown]
	v_add_f16_e32 v36, v50, v39
	v_sub_f16_e32 v18, v18, v40
	v_add_f16_e32 v42, v42, v9
	v_sub_f16_e32 v24, v24, v27
	v_add_f16_e32 v27, v17, v16
	v_add_f16_e32 v32, v36, v37
	;; [unrolled: 1-line block ×3, first 2 shown]
	v_sub_f16_e32 v20, v20, v33
	v_add_f16_e32 v36, v34, v13
	v_add_f16_e32 v39, v37, v11
	;; [unrolled: 1-line block ×5, first 2 shown]
	v_pk_mul_f16 v35, 0xba62bb29, v20 op_sel_hi:[1,0]
	v_sub_f16_e32 v22, v22, v30
	v_add_f16_e32 v26, v29, v34
	v_pk_mul_f16 v29, 0xb964b5c8, v18 op_sel_hi:[1,0]
	v_pk_mul_f16 v34, 0xbbf7b964, v19 op_sel_hi:[1,0]
	v_add_f16_e32 v30, v31, v14
	v_pk_mul_f16 v37, 0xb1e1bbf7, v21 op_sel_hi:[1,0]
	v_add_f16_e32 v26, v26, v31
	v_pk_mul_f16 v31, 0x3836bbb2, v22 op_sel_hi:[1,0]
	v_pk_fma_f16 v56, 0x2de839e9, v40, v34 op_sel_hi:[1,0,1] neg_lo:[0,0,1] neg_hi:[0,0,1]
	v_pk_fma_f16 v34, 0x2de839e9, v40, v34 op_sel_hi:[1,0,1]
	v_pk_fma_f16 v57, 0xb8d23722, v39, v35 op_sel_hi:[1,0,1] neg_lo:[0,0,1] neg_hi:[0,0,1]
	v_add_f16_e32 v26, v26, v28
	v_pk_mul_f16 v28, 0xbbf7bb29, v18 op_sel_hi:[1,0]
	v_pk_mul_f16 v50, 0x3bb2ba62, v23 op_sel_hi:[1,0]
	;; [unrolled: 1-line block ×3, first 2 shown]
	v_pk_fma_f16 v58, 0xbbdd2de8, v33, v37 op_sel_hi:[1,0,1] neg_lo:[0,0,1] neg_hi:[0,0,1]
	v_add_f16_e32 v17, v26, v17
	v_pk_fma_f16 v26, 0x39e93b76, v42, v29 op_sel_hi:[1,0,1] neg_lo:[0,0,1] neg_hi:[0,0,1]
	v_pk_fma_f16 v29, 0x39e93b76, v42, v29 op_sel_hi:[1,0,1]
	v_pk_mul_f16 v51, 0x3b29b836, v24 op_sel_hi:[1,0]
	v_pk_mul_f16 v54, 0x3bb231e1, v20 op_sel_hi:[1,0]
	v_add_f16_e32 v16, v17, v16
	v_pk_add_f16 v26, v6, v26 op_sel_hi:[0,1]
	v_pk_add_f16 v29, v6, v29 op_sel_hi:[0,1]
	v_pk_fma_f16 v17, 0xbacdb461, v36, v31 op_sel_hi:[1,0,1] neg_lo:[0,0,1] neg_hi:[0,0,1]
	v_pk_mul_f16 v52, 0x35c8b1e1, v25 op_sel_hi:[1,0]
	v_add_f16_e32 v15, v15, v16
	v_pk_add_f16 v26, v26, v56
	v_pk_add_f16 v29, v29, v34
	v_pk_mul_f16 v55, 0x35c83bb2, v21 op_sel_hi:[1,0]
	v_pk_fma_f16 v59, 0xb461b8d2, v30, v50 op_sel_hi:[1,0,1] neg_lo:[0,0,1] neg_hi:[0,0,1]
	v_add_f16_e32 v14, v14, v15
	v_pk_fma_f16 v15, 0xb8d23722, v39, v35 op_sel_hi:[1,0,1]
	v_pk_fma_f16 v35, 0xbbdd2de8, v33, v37 op_sel_hi:[1,0,1]
	v_pk_add_f16 v26, v26, v57
	v_pk_fma_f16 v16, 0x3722bacd, v32, v51 op_sel_hi:[1,0,1] neg_lo:[0,0,1] neg_hi:[0,0,1]
	v_add_f16_e32 v13, v13, v14
	v_pk_add_f16 v15, v29, v15
	v_pk_fma_f16 v14, 0xbacdb461, v36, v31 op_sel_hi:[1,0,1]
	v_pk_fma_f16 v31, 0xb461b8d2, v30, v50 op_sel_hi:[1,0,1]
	v_pk_add_f16 v26, v26, v58
	v_add_f16_e32 v12, v12, v13
	v_pk_fma_f16 v13, 0x2de83722, v42, v28 op_sel_hi:[1,0,1] neg_lo:[0,0,1] neg_hi:[0,0,1]
	v_pk_add_f16 v15, v15, v35
	v_pk_fma_f16 v29, 0xbbddb8d2, v40, v53 op_sel_hi:[1,0,1] neg_lo:[0,0,1] neg_hi:[0,0,1]
	v_pk_add_f16 v17, v26, v17
	v_add_f16_e32 v11, v11, v12
	v_pk_add_f16 v12, v6, v13 op_sel_hi:[0,1]
	v_pk_add_f16 v14, v15, v14
	v_pk_fma_f16 v13, 0xb461bbdd, v39, v54 op_sel_hi:[1,0,1] neg_lo:[0,0,1] neg_hi:[0,0,1]
	v_pk_add_f16 v15, v17, v59
	v_add_f16_e32 v10, v10, v11
	v_pk_add_f16 v11, v12, v29
	v_pk_fma_f16 v12, 0x3722bacd, v32, v51 op_sel_hi:[1,0,1]
	v_pk_add_f16 v14, v14, v31
	v_pk_add_f16 v15, v15, v16
	v_add_f16_e32 v17, v9, v10
	v_pk_add_f16 v9, v11, v13
	v_pk_fma_f16 v10, 0x3b76b461, v33, v55 op_sel_hi:[1,0,1] neg_lo:[0,0,1] neg_hi:[0,0,1]
	v_pk_mul_f16 v11, 0xbb293964, v22 op_sel_hi:[1,0]
	v_pk_add_f16 v12, v14, v12
	v_pk_fma_f16 v14, 0x3b76bbdd, v27, v52 op_sel_hi:[1,0,1]
	v_pk_fma_f16 v13, 0x3b76bbdd, v27, v52 op_sel_hi:[1,0,1] neg_lo:[0,0,1] neg_hi:[0,0,1]
	v_pk_add_f16 v10, v9, v10
	v_pk_fma_f16 v16, 0x372239e9, v36, v11 op_sel_hi:[1,0,1] neg_lo:[0,0,1] neg_hi:[0,0,1]
	v_pk_mul_f16 v26, 0xb836b5c8, v23 op_sel_hi:[1,0]
	v_pk_add_f16 v29, v12, v14
	v_pk_fma_f16 v12, 0x2de83722, v42, v28 op_sel_hi:[1,0,1]
	v_pk_add_f16 v9, v15, v13
	v_pk_add_f16 v10, v10, v16
	v_pk_fma_f16 v13, 0xbacd3b76, v30, v26 op_sel_hi:[1,0,1] neg_lo:[0,0,1] neg_hi:[0,0,1]
	v_pk_mul_f16 v14, 0x3a62bbf7, v24 op_sel_hi:[1,0]
	v_pk_mul_f16 v15, 0xba62bbb2, v18 op_sel_hi:[1,0]
	v_pk_add_f16 v12, v6, v12 op_sel_hi:[0,1]
	v_pk_fma_f16 v16, 0xbbddb8d2, v40, v53 op_sel_hi:[1,0,1]
	v_pk_add_f16 v10, v10, v13
	v_pk_fma_f16 v13, 0xb8d22de8, v32, v14 op_sel_hi:[1,0,1] neg_lo:[0,0,1] neg_hi:[0,0,1]
	v_pk_fma_f16 v28, 0xb8d2b461, v42, v15 op_sel_hi:[1,0,1] neg_lo:[0,0,1] neg_hi:[0,0,1]
	v_pk_mul_f16 v31, 0x3bb23836, v19 op_sel_hi:[1,0]
	v_pk_add_f16 v12, v12, v16
	v_pk_fma_f16 v16, 0xb461bbdd, v39, v54 op_sel_hi:[1,0,1]
	v_pk_add_f16 v10, v10, v13
	v_pk_add_f16 v13, v6, v28 op_sel_hi:[0,1]
	v_pk_fma_f16 v28, 0xb461bacd, v40, v31 op_sel_hi:[1,0,1] neg_lo:[0,0,1] neg_hi:[0,0,1]
	v_pk_mul_f16 v34, 0xb5c83964, v20 op_sel_hi:[1,0]
	v_pk_add_f16 v12, v12, v16
	v_pk_fma_f16 v16, 0x3b76b461, v33, v55 op_sel_hi:[1,0,1]
	v_pk_mul_f16 v35, 0x3964b836, v25 op_sel_hi:[1,0]
	v_pk_add_f16 v13, v13, v28
	v_pk_fma_f16 v28, 0x3b7639e9, v39, v34 op_sel_hi:[1,0,1] neg_lo:[0,0,1] neg_hi:[0,0,1]
	v_pk_mul_f16 v37, 0xb836bb29, v21 op_sel_hi:[1,0]
	v_pk_add_f16 v12, v12, v16
	v_pk_fma_f16 v11, 0x372239e9, v36, v11 op_sel_hi:[1,0,1]
	v_pk_fma_f16 v16, 0x39e9bacd, v27, v35 op_sel_hi:[1,0,1] neg_lo:[0,0,1] neg_hi:[0,0,1]
	v_pk_add_f16 v13, v13, v28
	v_pk_fma_f16 v28, 0xbacd3722, v33, v37 op_sel_hi:[1,0,1] neg_lo:[0,0,1] neg_hi:[0,0,1]
	v_pk_mul_f16 v50, 0x3bf7b1e1, v22 op_sel_hi:[1,0]
	v_pk_add_f16 v11, v12, v11
	v_pk_fma_f16 v12, 0xbacd3b76, v30, v26 op_sel_hi:[1,0,1]
	v_pk_add_f16 v10, v10, v16
	v_pk_add_f16 v13, v13, v28
	v_pk_fma_f16 v16, 0x2de8bbdd, v36, v50 op_sel_hi:[1,0,1] neg_lo:[0,0,1] neg_hi:[0,0,1]
	v_pk_mul_f16 v26, 0xb9643bf7, v23 op_sel_hi:[1,0]
	v_pk_add_f16 v11, v11, v12
	v_pk_fma_f16 v12, 0xb8d2b461, v42, v15 op_sel_hi:[1,0,1]
	v_pk_fma_f16 v14, 0xb8d22de8, v32, v14 op_sel_hi:[1,0,1]
	v_pk_add_f16 v13, v13, v16
	v_pk_fma_f16 v15, 0x39e92de8, v30, v26 op_sel_hi:[1,0,1] neg_lo:[0,0,1] neg_hi:[0,0,1]
	v_pk_mul_f16 v16, 0xb1e1b5c8, v24 op_sel_hi:[1,0]
	v_pk_add_f16 v12, v6, v12 op_sel_hi:[0,1]
	v_pk_fma_f16 v28, 0xb461bacd, v40, v31 op_sel_hi:[1,0,1]
	v_pk_add_f16 v11, v11, v14
	v_pk_fma_f16 v14, 0x39e9bacd, v27, v35 op_sel_hi:[1,0,1]
	v_pk_add_f16 v13, v13, v15
	v_pk_fma_f16 v15, 0xbbdd3b76, v32, v16 op_sel_hi:[1,0,1] neg_lo:[0,0,1] neg_hi:[0,0,1]
	v_pk_add_f16 v12, v12, v28
	v_pk_fma_f16 v28, 0x3b7639e9, v39, v34 op_sel_hi:[1,0,1]
	v_pk_add_f16 v31, v11, v14
	v_pk_mul_f16 v11, 0xb1e1b836, v18 op_sel_hi:[1,0]
	v_pk_add_f16 v13, v13, v15
	v_pk_fma_f16 v15, 0xbacd3722, v33, v37 op_sel_hi:[1,0,1]
	v_pk_add_f16 v12, v12, v28
	v_pk_mul_f16 v19, 0x35c83b29, v19 op_sel_hi:[1,0]
	v_pk_fma_f16 v18, 0xbbddbacd, v42, v11 op_sel_hi:[1,0,1]
	v_pk_fma_f16 v11, 0xbbddbacd, v42, v11 op_sel_hi:[1,0,1] neg_lo:[0,0,1] neg_hi:[0,0,1]
	v_pk_mul_f16 v20, 0xb836bbf7, v20 op_sel_hi:[1,0]
	v_pk_add_f16 v12, v12, v15
	v_pk_mul_f16 v21, 0x39643a62, v21 op_sel_hi:[1,0]
	v_pk_add_f16 v15, v6, v18 op_sel_hi:[0,1]
	v_pk_fma_f16 v18, 0x3b763722, v40, v19 op_sel_hi:[1,0,1]
	v_pk_add_f16 v6, v6, v11 op_sel_hi:[0,1]
	v_pk_fma_f16 v11, 0x3b763722, v40, v19 op_sel_hi:[1,0,1] neg_lo:[0,0,1] neg_hi:[0,0,1]
	v_pk_fma_f16 v19, 0x2de8bbdd, v36, v50 op_sel_hi:[1,0,1]
	v_pk_mul_f16 v14, 0x3b29ba62, v25 op_sel_hi:[1,0]
	v_pk_add_f16 v15, v15, v18
	v_pk_fma_f16 v18, 0xbacd2de8, v39, v20 op_sel_hi:[1,0,1]
	v_pk_add_f16 v6, v6, v11
	v_pk_fma_f16 v11, 0xbacd2de8, v39, v20 op_sel_hi:[1,0,1] neg_lo:[0,0,1] neg_hi:[0,0,1]
	v_pk_add_f16 v12, v12, v19
	v_pk_mul_f16 v19, 0xba62b5c8, v22 op_sel_hi:[1,0]
	v_pk_add_f16 v15, v15, v18
	v_pk_fma_f16 v18, 0x39e9b8d2, v33, v21 op_sel_hi:[1,0,1]
	v_pk_add_f16 v6, v6, v11
	v_pk_fma_f16 v11, 0x39e9b8d2, v33, v21 op_sel_hi:[1,0,1] neg_lo:[0,0,1] neg_hi:[0,0,1]
	v_pk_mul_f16 v21, 0x3b29b1e1, v23 op_sel_hi:[1,0]
	v_pk_fma_f16 v20, 0x39e92de8, v30, v26 op_sel_hi:[1,0,1]
	v_pk_add_f16 v15, v15, v18
	v_pk_fma_f16 v18, 0xb8d23b76, v36, v19 op_sel_hi:[1,0,1]
	v_pk_add_f16 v6, v6, v11
	v_pk_fma_f16 v11, 0xb8d23b76, v36, v19 op_sel_hi:[1,0,1] neg_lo:[0,0,1] neg_hi:[0,0,1]
	v_pk_mul_f16 v19, 0xbbb23964, v24 op_sel_hi:[1,0]
	v_pk_add_f16 v12, v12, v20
	v_pk_add_f16 v15, v15, v18
	v_pk_fma_f16 v18, 0x3722bbdd, v30, v21 op_sel_hi:[1,0,1]
	v_pk_add_f16 v6, v6, v11
	v_pk_fma_f16 v11, 0x3722bbdd, v30, v21 op_sel_hi:[1,0,1] neg_lo:[0,0,1] neg_hi:[0,0,1]
	v_pk_fma_f16 v16, 0xbbdd3b76, v32, v16 op_sel_hi:[1,0,1]
	v_pk_mul_f16 v20, 0x3bf7bbb2, v25 op_sel_hi:[1,0]
	v_pk_add_f16 v15, v15, v18
	v_pk_fma_f16 v18, 0xb46139e9, v32, v19 op_sel_hi:[1,0,1]
	v_pk_add_f16 v6, v6, v11
	v_pk_fma_f16 v11, 0xb46139e9, v32, v19 op_sel_hi:[1,0,1] neg_lo:[0,0,1] neg_hi:[0,0,1]
	v_pk_fma_f16 v28, 0x3722b8d2, v27, v14 op_sel_hi:[1,0,1] neg_lo:[0,0,1] neg_hi:[0,0,1]
	v_pk_add_f16 v12, v12, v16
	v_pk_add_f16 v15, v15, v18
	v_pk_fma_f16 v16, 0x2de8b461, v27, v20 op_sel_hi:[1,0,1]
	v_pk_fma_f16 v14, 0x3722b8d2, v27, v14 op_sel_hi:[1,0,1]
	v_pk_add_f16 v6, v6, v11
	v_pk_fma_f16 v18, 0x2de8b461, v27, v20 op_sel_hi:[1,0,1] neg_lo:[0,0,1] neg_hi:[0,0,1]
	v_lshlrev_b32_e32 v19, 5, v3
	v_pk_add_f16 v15, v15, v16
	v_pk_add_f16 v14, v12, v14
	;; [unrolled: 1-line block ×4, first 2 shown]
	v_add3_u32 v6, v49, v19, v0
	v_alignbit_b32 v13, v15, v15, 16
	v_alignbit_b32 v14, v14, v14, 16
	v_alignbit_b32 v15, v31, v31, 16
	v_alignbit_b32 v16, v29, v29, 16
	ds_store_b16 v6, v17
	ds_store_b128 v6, v[9:12] offset:2
	ds_store_b128 v6, v[13:16] offset:18
.LBB0_16:
	s_wait_alu 0xfffe
	s_or_b32 exec_lo, exec_lo, s1
	v_and_b32_e32 v6, 0xff, v3
	v_add_nc_u16 v9, v3, 51
	v_add_nc_u16 v10, v3, 0x66
	global_wb scope:SCOPE_SE
	s_wait_dscnt 0x0
	s_barrier_signal -1
	v_mul_lo_u16 v6, 0xf1, v6
	v_and_b32_e32 v11, 0xff, v9
	v_and_b32_e32 v12, 0xff, v10
	s_barrier_wait -1
	global_inv scope:SCOPE_SE
	v_lshrrev_b16 v6, 12, v6
	v_mul_lo_u16 v11, 0xf1, v11
	v_mul_lo_u16 v12, 0xf1, v12
	s_delay_alu instid0(VALU_DEP_3) | instskip(NEXT) | instid1(VALU_DEP_3)
	v_mul_lo_u16 v13, v6, 17
	v_lshrrev_b16 v15, 12, v11
	s_delay_alu instid0(VALU_DEP_3) | instskip(SKIP_1) | instid1(VALU_DEP_4)
	v_lshrrev_b16 v16, 12, v12
	v_and_b32_e32 v6, 0xffff, v6
	v_sub_nc_u16 v11, v3, v13
	s_delay_alu instid0(VALU_DEP_4) | instskip(SKIP_1) | instid1(VALU_DEP_4)
	v_mul_lo_u16 v12, v15, 17
	v_and_b32_e32 v15, 0xffff, v15
	v_mad_u32_u24 v6, 0x66, v6, 0
	s_delay_alu instid0(VALU_DEP_4)
	v_and_b32_e32 v17, 0xff, v11
	v_mul_lo_u16 v11, v16, 17
	v_sub_nc_u16 v9, v9, v12
	v_and_b32_e32 v16, 0xffff, v16
	v_mad_u32_u24 v15, 0x66, v15, 0
	v_lshlrev_b32_e32 v12, 3, v17
	v_sub_nc_u16 v11, v10, v11
	v_and_b32_e32 v18, 0xff, v9
	v_lshlrev_b32_e32 v17, 1, v17
	v_mad_u32_u24 v16, 0x66, v16, 0
	global_load_b64 v[9:10], v12, s[4:5]
	v_and_b32_e32 v19, 0xff, v11
	v_lshlrev_b32_e32 v11, 3, v18
	v_lshlrev_b32_e32 v18, 1, v18
	v_add3_u32 v17, v6, v17, v0
	s_delay_alu instid0(VALU_DEP_4) | instskip(SKIP_1) | instid1(VALU_DEP_4)
	v_lshlrev_b32_e32 v13, 3, v19
	v_lshlrev_b32_e32 v19, 1, v19
	v_add3_u32 v18, v15, v18, v0
	s_clause 0x1
	global_load_b64 v[11:12], v11, s[4:5]
	global_load_b64 v[13:14], v13, s[4:5]
	ds_load_u16 v20, v7
	ds_load_u16 v21, v8 offset:102
	ds_load_u16 v22, v8 offset:408
	;; [unrolled: 1-line block ×8, first 2 shown]
	v_add3_u32 v16, v16, v19, v0
	global_wb scope:SCOPE_SE
	s_wait_loadcnt_dscnt 0x0
	s_barrier_signal -1
	s_barrier_wait -1
	global_inv scope:SCOPE_SE
	v_lshrrev_b32_e32 v6, 16, v9
	v_lshrrev_b32_e32 v29, 16, v10
	s_delay_alu instid0(VALU_DEP_2) | instskip(SKIP_1) | instid1(VALU_DEP_3)
	v_mul_f16_e32 v0, v26, v6
	v_mul_f16_e32 v6, v48, v6
	;; [unrolled: 1-line block ×4, first 2 shown]
	v_lshrrev_b32_e32 v29, 16, v11
	v_lshrrev_b32_e32 v30, 16, v12
	;; [unrolled: 1-line block ×4, first 2 shown]
	v_fmac_f16_e32 v0, v48, v9
	v_fma_f16 v6, v26, v9, -v6
	v_fmac_f16_e32 v15, v47, v10
	v_fma_f16 v9, v24, v10, -v19
	v_mul_f16_e32 v10, v22, v29
	v_mul_f16_e32 v19, v44, v29
	;; [unrolled: 1-line block ×8, first 2 shown]
	v_fmac_f16_e32 v10, v44, v11
	v_fma_f16 v11, v22, v11, -v19
	v_fmac_f16_e32 v24, v43, v12
	v_fma_f16 v12, v23, v12, -v26
	;; [unrolled: 2-line block ×3, first 2 shown]
	v_fmac_f16_e32 v31, v46, v14
	v_add_f16_e32 v19, v5, v0
	v_add_f16_e32 v22, v0, v15
	;; [unrolled: 1-line block ×3, first 2 shown]
	v_sub_f16_e32 v23, v6, v9
	v_add_f16_e32 v6, v6, v9
	v_fma_f16 v14, v28, v14, -v32
	v_sub_f16_e32 v0, v0, v15
	v_add_f16_e32 v15, v19, v15
	v_fmac_f16_e32 v5, -0.5, v22
	v_add_f16_e32 v19, v25, v9
	v_add_f16_e32 v9, v10, v24
	v_sub_f16_e32 v22, v11, v12
	v_add_f16_e32 v25, v21, v11
	v_add_f16_e32 v11, v11, v12
	;; [unrolled: 1-line block ×3, first 2 shown]
	v_fmac_f16_e32 v20, -0.5, v6
	v_add_f16_e32 v6, v38, v10
	v_sub_f16_e32 v10, v10, v24
	v_add_f16_e32 v26, v41, v29
	v_sub_f16_e32 v30, v13, v14
	v_fmac_f16_e32 v38, -0.5, v9
	v_fmac_f16_e32 v21, -0.5, v11
	;; [unrolled: 1-line block ×3, first 2 shown]
	v_add_f16_e32 v32, v27, v13
	v_add_f16_e32 v13, v13, v14
	v_fmamk_f16 v33, v23, 0xbaee, v5
	v_fmac_f16_e32 v5, 0x3aee, v23
	v_fmamk_f16 v23, v0, 0x3aee, v20
	v_fmac_f16_e32 v20, 0xbaee, v0
	v_add_f16_e32 v0, v6, v24
	v_add_f16_e32 v6, v26, v31
	v_fmamk_f16 v9, v22, 0xbaee, v38
	v_fmac_f16_e32 v38, 0x3aee, v22
	v_fmamk_f16 v22, v10, 0x3aee, v21
	v_fmac_f16_e32 v21, 0xbaee, v10
	v_fmamk_f16 v10, v30, 0xbaee, v41
	v_add_f16_e32 v24, v25, v12
	v_add_f16_e32 v25, v32, v14
	v_fmac_f16_e32 v27, -0.5, v13
	v_fmac_f16_e32 v41, 0x3aee, v30
	ds_store_b16 v17, v15
	ds_store_b16 v17, v33 offset:34
	ds_store_b16 v17, v5 offset:68
	ds_store_b16 v18, v0
	ds_store_b16 v18, v9 offset:34
	ds_store_b16 v18, v38 offset:68
	;; [unrolled: 3-line block ×3, first 2 shown]
	global_wb scope:SCOPE_SE
	s_wait_dscnt 0x0
	s_barrier_signal -1
	s_barrier_wait -1
	global_inv scope:SCOPE_SE
	ds_load_u16 v0, v7
	ds_load_u16 v6, v8 offset:102
	ds_load_u16 v10, v8 offset:204
	ds_load_u16 v9, v8 offset:306
	ds_load_u16 v13, v8 offset:408
	ds_load_u16 v14, v8 offset:510
	ds_load_u16 v11, v8 offset:612
	ds_load_u16 v15, v8 offset:714
	ds_load_u16 v12, v8 offset:816
	v_sub_f16_e32 v29, v29, v31
	global_wb scope:SCOPE_SE
	s_wait_dscnt 0x0
	s_barrier_signal -1
	s_barrier_wait -1
	global_inv scope:SCOPE_SE
	v_fmamk_f16 v5, v29, 0x3aee, v27
	v_fmac_f16_e32 v27, 0xbaee, v29
	ds_store_b16 v17, v19
	ds_store_b16 v17, v23 offset:34
	ds_store_b16 v17, v20 offset:68
	ds_store_b16 v18, v24
	ds_store_b16 v18, v22 offset:34
	ds_store_b16 v18, v21 offset:68
	;; [unrolled: 3-line block ×3, first 2 shown]
	global_wb scope:SCOPE_SE
	s_wait_dscnt 0x0
	s_barrier_signal -1
	s_barrier_wait -1
	global_inv scope:SCOPE_SE
	s_and_saveexec_b32 s0, vcc_lo
	s_cbranch_execz .LBB0_18
; %bb.17:
	v_dual_mov_b32 v24, 0 :: v_dual_lshlrev_b32 v23, 3, v3
	v_lshlrev_b64_e32 v[1:2], 2, v[1:2]
	s_delay_alu instid0(VALU_DEP_2) | instskip(SKIP_1) | instid1(VALU_DEP_1)
	v_lshlrev_b64_e32 v[16:17], 2, v[23:24]
	v_mov_b32_e32 v5, v24
	v_lshlrev_b64_e32 v[3:4], 2, v[4:5]
	s_delay_alu instid0(VALU_DEP_3) | instskip(SKIP_1) | instid1(VALU_DEP_4)
	v_add_co_u32 v20, vcc_lo, s4, v16
	s_wait_alu 0xfffd
	v_add_co_ci_u32_e32 v21, vcc_lo, s5, v17, vcc_lo
	v_add_co_u32 v1, vcc_lo, s8, v1
	s_clause 0x1
	global_load_b128 v[16:19], v[20:21], off offset:136
	global_load_b128 v[20:23], v[20:21], off offset:152
	ds_load_u16 v25, v8 offset:816
	ds_load_u16 v26, v8 offset:714
	;; [unrolled: 1-line block ×8, first 2 shown]
	ds_load_u16 v7, v7
	s_wait_alu 0xfffd
	v_add_co_ci_u32_e32 v2, vcc_lo, s9, v2, vcc_lo
	v_add_co_u32 v1, vcc_lo, v1, v3
	s_wait_alu 0xfffd
	s_delay_alu instid0(VALU_DEP_2)
	v_add_co_ci_u32_e32 v2, vcc_lo, v2, v4, vcc_lo
	s_wait_loadcnt 0x1
	v_lshrrev_b32_e32 v3, 16, v16
	v_lshrrev_b32_e32 v4, 16, v17
	;; [unrolled: 1-line block ×3, first 2 shown]
	s_wait_loadcnt 0x0
	v_lshrrev_b32_e32 v32, 16, v23
	v_lshrrev_b32_e32 v33, 16, v20
	;; [unrolled: 1-line block ×5, first 2 shown]
	v_mul_f16_e32 v36, v6, v3
	v_mul_f16_e32 v37, v12, v32
	;; [unrolled: 1-line block ×6, first 2 shown]
	s_wait_dscnt 0x4
	v_mul_f16_e32 v33, v28, v33
	v_mul_f16_e32 v31, v27, v31
	v_mul_f16_e32 v35, v26, v35
	s_wait_dscnt 0x2
	v_mul_f16_e32 v4, v30, v4
	v_mul_f16_e32 v32, v25, v32
	s_wait_dscnt 0x1
	v_mul_f16_e32 v3, v5, v3
	v_mul_f16_e32 v38, v9, v8
	;; [unrolled: 1-line block ×5, first 2 shown]
	v_fma_f16 v5, v5, v16, -v36
	v_fma_f16 v25, v25, v23, -v37
	;; [unrolled: 1-line block ×6, first 2 shown]
	v_fmac_f16_e32 v33, v14, v20
	v_fmac_f16_e32 v31, v13, v19
	;; [unrolled: 1-line block ×6, first 2 shown]
	v_fma_f16 v29, v29, v18, -v38
	v_fma_f16 v24, v24, v21, -v39
	v_fmac_f16_e32 v34, v11, v21
	v_fmac_f16_e32 v8, v9, v18
	v_sub_f16_e32 v6, v5, v25
	v_sub_f16_e32 v11, v27, v28
	v_add_f16_e32 v13, v4, v35
	v_add_f16_e32 v15, v3, v32
	v_sub_f16_e32 v16, v31, v33
	v_add_f16_e32 v17, v30, v26
	v_add_f16_e32 v5, v5, v25
	v_sub_f16_e32 v9, v29, v24
	v_sub_f16_e32 v10, v30, v26
	v_add_f16_e32 v14, v8, v34
	v_sub_f16_e32 v4, v4, v35
	v_add_f16_e32 v19, v29, v24
	v_mul_f16_e32 v20, 0x3be1, v11
	v_mul_f16_e32 v22, 0x3be1, v16
	v_add_f16_e32 v24, v5, v17
	v_add_f16_e32 v25, v15, v13
	v_sub_f16_e32 v3, v3, v32
	v_sub_f16_e32 v8, v8, v34
	v_mul_f16_e32 v36, 0xb924, v16
	v_fma_f16 v20, v10, 0xb924, -v20
	v_fma_f16 v22, v4, 0xb924, -v22
	v_add_f16_e32 v40, v19, v24
	v_add_f16_e32 v41, v14, v25
	v_add_f16_e32 v12, v31, v33
	v_add_f16_e32 v18, v27, v28
	v_mul_f16_e32 v35, 0xb924, v11
	v_mul_f16_e32 v38, 0x3be1, v10
	;; [unrolled: 1-line block ×3, first 2 shown]
	v_fmac_f16_e32 v36, 0x3be1, v3
	v_fmac_f16_e32 v20, 0x3aee, v9
	;; [unrolled: 1-line block ×3, first 2 shown]
	v_add_f16_e32 v27, v40, v27
	v_add_f16_e32 v31, v41, v31
	;; [unrolled: 1-line block ×4, first 2 shown]
	v_fmac_f16_e32 v35, 0x3be1, v6
	v_fmac_f16_e32 v38, 0x3924, v6
	;; [unrolled: 1-line block ×6, first 2 shown]
	v_add_f16_e32 v3, v27, v28
	v_add_f16_e32 v6, v31, v33
	v_fmamk_f16 v21, v13, 0x3a21, v0
	s_wait_dscnt 0x0
	v_fmamk_f16 v23, v17, 0x3a21, v7
	v_add_f16_e32 v26, v0, v14
	v_add_f16_e32 v32, v19, v7
	v_fmamk_f16 v34, v12, 0x3a21, v0
	v_fmamk_f16 v37, v18, 0x3a21, v7
	v_sub_f16_e32 v30, v30, v4
	v_fmac_f16_e32 v36, 0x3579, v4
	v_add_f16_e32 v3, v7, v3
	v_add_f16_e32 v4, v0, v6
	v_fmac_f16_e32 v0, 0x3a21, v15
	v_fmac_f16_e32 v7, 0x3a21, v5
	;; [unrolled: 1-line block ×8, first 2 shown]
	v_add_f16_e32 v25, v25, v12
	v_add_f16_e32 v24, v24, v18
	v_fmac_f16_e32 v21, -0.5, v14
	v_fmac_f16_e32 v23, -0.5, v19
	;; [unrolled: 1-line block ×3, first 2 shown]
	v_fmac_f16_e32 v35, 0xbaee, v9
	v_fmac_f16_e32 v37, -0.5, v19
	v_fmac_f16_e32 v38, 0x3aee, v9
	v_fmac_f16_e32 v39, 0x3aee, v8
	v_fmac_f16_e32 v0, -0.5, v14
	v_fmac_f16_e32 v7, -0.5, v19
	v_sub_f16_e32 v29, v29, v10
	v_fmac_f16_e32 v26, -0.5, v25
	v_fmac_f16_e32 v32, -0.5, v24
	v_fmac_f16_e32 v21, 0xbb84, v15
	v_fmac_f16_e32 v23, 0xbb84, v5
	;; [unrolled: 1-line block ×9, first 2 shown]
	v_mul_f16_e32 v25, 0x3aee, v29
	v_mul_f16_e32 v40, 0x3aee, v30
	v_fmac_f16_e32 v26, 0xbaee, v29
	v_fmac_f16_e32 v32, 0x3aee, v30
	v_sub_f16_e32 v5, v21, v20
	v_add_f16_e32 v6, v22, v23
	v_sub_f16_e32 v10, v34, v35
	v_add_f16_e32 v11, v36, v37
	;; [unrolled: 2-line block ×3, first 2 shown]
	v_fma_f16 v8, 2.0, v25, v26
	v_fma_f16 v9, -2.0, v40, v32
	v_fma_f16 v14, 2.0, v20, v5
	v_fma_f16 v12, -2.0, v22, v6
	;; [unrolled: 2-line block ×3, first 2 shown]
	v_pack_b32_f16 v3, v4, v3
	v_pack_b32_f16 v4, v10, v11
	;; [unrolled: 1-line block ×3, first 2 shown]
	v_fma_f16 v6, 2.0, v38, v0
	v_fma_f16 v10, -2.0, v39, v7
	v_pack_b32_f16 v0, v0, v7
	v_pack_b32_f16 v13, v26, v32
	;; [unrolled: 1-line block ×6, first 2 shown]
	s_clause 0x8
	global_store_b32 v[1:2], v3, off
	global_store_b32 v[1:2], v0, off offset:204
	global_store_b32 v[1:2], v4, off offset:408
	;; [unrolled: 1-line block ×8, first 2 shown]
.LBB0_18:
	s_nop 0
	s_sendmsg sendmsg(MSG_DEALLOC_VGPRS)
	s_endpgm
	.section	.rodata,"a",@progbits
	.p2align	6, 0x0
	.amdhsa_kernel fft_rtc_back_len459_factors_17_3_9_wgs_255_tpt_51_halfLds_half_ip_CI_unitstride_sbrr_dirReg
		.amdhsa_group_segment_fixed_size 0
		.amdhsa_private_segment_fixed_size 0
		.amdhsa_kernarg_size 88
		.amdhsa_user_sgpr_count 2
		.amdhsa_user_sgpr_dispatch_ptr 0
		.amdhsa_user_sgpr_queue_ptr 0
		.amdhsa_user_sgpr_kernarg_segment_ptr 1
		.amdhsa_user_sgpr_dispatch_id 0
		.amdhsa_user_sgpr_private_segment_size 0
		.amdhsa_wavefront_size32 1
		.amdhsa_uses_dynamic_stack 0
		.amdhsa_enable_private_segment 0
		.amdhsa_system_sgpr_workgroup_id_x 1
		.amdhsa_system_sgpr_workgroup_id_y 0
		.amdhsa_system_sgpr_workgroup_id_z 0
		.amdhsa_system_sgpr_workgroup_info 0
		.amdhsa_system_vgpr_workitem_id 0
		.amdhsa_next_free_vgpr 87
		.amdhsa_next_free_sgpr 32
		.amdhsa_reserve_vcc 1
		.amdhsa_float_round_mode_32 0
		.amdhsa_float_round_mode_16_64 0
		.amdhsa_float_denorm_mode_32 3
		.amdhsa_float_denorm_mode_16_64 3
		.amdhsa_fp16_overflow 0
		.amdhsa_workgroup_processor_mode 1
		.amdhsa_memory_ordered 1
		.amdhsa_forward_progress 0
		.amdhsa_round_robin_scheduling 0
		.amdhsa_exception_fp_ieee_invalid_op 0
		.amdhsa_exception_fp_denorm_src 0
		.amdhsa_exception_fp_ieee_div_zero 0
		.amdhsa_exception_fp_ieee_overflow 0
		.amdhsa_exception_fp_ieee_underflow 0
		.amdhsa_exception_fp_ieee_inexact 0
		.amdhsa_exception_int_div_zero 0
	.end_amdhsa_kernel
	.text
.Lfunc_end0:
	.size	fft_rtc_back_len459_factors_17_3_9_wgs_255_tpt_51_halfLds_half_ip_CI_unitstride_sbrr_dirReg, .Lfunc_end0-fft_rtc_back_len459_factors_17_3_9_wgs_255_tpt_51_halfLds_half_ip_CI_unitstride_sbrr_dirReg
                                        ; -- End function
	.section	.AMDGPU.csdata,"",@progbits
; Kernel info:
; codeLenInByte = 8148
; NumSgprs: 34
; NumVgprs: 87
; ScratchSize: 0
; MemoryBound: 0
; FloatMode: 240
; IeeeMode: 1
; LDSByteSize: 0 bytes/workgroup (compile time only)
; SGPRBlocks: 4
; VGPRBlocks: 10
; NumSGPRsForWavesPerEU: 34
; NumVGPRsForWavesPerEU: 87
; Occupancy: 16
; WaveLimiterHint : 1
; COMPUTE_PGM_RSRC2:SCRATCH_EN: 0
; COMPUTE_PGM_RSRC2:USER_SGPR: 2
; COMPUTE_PGM_RSRC2:TRAP_HANDLER: 0
; COMPUTE_PGM_RSRC2:TGID_X_EN: 1
; COMPUTE_PGM_RSRC2:TGID_Y_EN: 0
; COMPUTE_PGM_RSRC2:TGID_Z_EN: 0
; COMPUTE_PGM_RSRC2:TIDIG_COMP_CNT: 0
	.text
	.p2alignl 7, 3214868480
	.fill 96, 4, 3214868480
	.type	__hip_cuid_f8706d56ccd5a1b7,@object ; @__hip_cuid_f8706d56ccd5a1b7
	.section	.bss,"aw",@nobits
	.globl	__hip_cuid_f8706d56ccd5a1b7
__hip_cuid_f8706d56ccd5a1b7:
	.byte	0                               ; 0x0
	.size	__hip_cuid_f8706d56ccd5a1b7, 1

	.ident	"AMD clang version 19.0.0git (https://github.com/RadeonOpenCompute/llvm-project roc-6.4.0 25133 c7fe45cf4b819c5991fe208aaa96edf142730f1d)"
	.section	".note.GNU-stack","",@progbits
	.addrsig
	.addrsig_sym __hip_cuid_f8706d56ccd5a1b7
	.amdgpu_metadata
---
amdhsa.kernels:
  - .args:
      - .actual_access:  read_only
        .address_space:  global
        .offset:         0
        .size:           8
        .value_kind:     global_buffer
      - .offset:         8
        .size:           8
        .value_kind:     by_value
      - .actual_access:  read_only
        .address_space:  global
        .offset:         16
        .size:           8
        .value_kind:     global_buffer
      - .actual_access:  read_only
        .address_space:  global
        .offset:         24
        .size:           8
        .value_kind:     global_buffer
      - .offset:         32
        .size:           8
        .value_kind:     by_value
      - .actual_access:  read_only
        .address_space:  global
        .offset:         40
        .size:           8
        .value_kind:     global_buffer
      - .actual_access:  read_only
        .address_space:  global
        .offset:         48
        .size:           8
        .value_kind:     global_buffer
      - .offset:         56
        .size:           4
        .value_kind:     by_value
      - .actual_access:  read_only
        .address_space:  global
        .offset:         64
        .size:           8
        .value_kind:     global_buffer
      - .actual_access:  read_only
        .address_space:  global
        .offset:         72
        .size:           8
        .value_kind:     global_buffer
      - .address_space:  global
        .offset:         80
        .size:           8
        .value_kind:     global_buffer
    .group_segment_fixed_size: 0
    .kernarg_segment_align: 8
    .kernarg_segment_size: 88
    .language:       OpenCL C
    .language_version:
      - 2
      - 0
    .max_flat_workgroup_size: 255
    .name:           fft_rtc_back_len459_factors_17_3_9_wgs_255_tpt_51_halfLds_half_ip_CI_unitstride_sbrr_dirReg
    .private_segment_fixed_size: 0
    .sgpr_count:     34
    .sgpr_spill_count: 0
    .symbol:         fft_rtc_back_len459_factors_17_3_9_wgs_255_tpt_51_halfLds_half_ip_CI_unitstride_sbrr_dirReg.kd
    .uniform_work_group_size: 1
    .uses_dynamic_stack: false
    .vgpr_count:     87
    .vgpr_spill_count: 0
    .wavefront_size: 32
    .workgroup_processor_mode: 1
amdhsa.target:   amdgcn-amd-amdhsa--gfx1201
amdhsa.version:
  - 1
  - 2
...

	.end_amdgpu_metadata
